;; amdgpu-corpus repo=ROCm/aiter kind=harvested arch=n/a opt=n/a

/root/src/amdgpu-assembly/repos/ROCm__aiter/hsa/gfx950/topksoftmax/topksoftmax_4x256x6.co:	file format elf64-amdgpu

Disassembly of section .text:

0000000000001c00 <_ZN5aiter19topksoftmax_4x256x6E>:
	s_and_b32 s1, s1, 0xffff                                   // 000000001C00: 8601FF01 0000FFFF
	s_load_dwordx2 s[4:5], s[0:1], 0x0                         // 000000001C08: C0060100 00000000
	s_load_dwordx2 s[8:9], s[0:1], 0x10                        // 000000001C10: C0060200 00000010
	s_load_dwordx2 s[12:13], s[0:1], 0x20                      // 000000001C18: C0060300 00000020
	s_load_dword s16, s[0:1], 0x30                             // 000000001C20: C0020400 00000030
	s_load_dword s17, s[0:1], 0x40                             // 000000001C28: C0020440 00000040
	s_load_dword s18, s[0:1], 0x50                             // 000000001C30: C0020480 00000050
	s_load_dword s54, s[0:1], 0x60                             // 000000001C38: C0020D80 00000060
	s_load_dword s55, s[0:1], 0x70                             // 000000001C40: C0020DC0 00000070
	v_lshrrev_b32_e32 v1, 10, v0                               // 000000001C48: 2002008A
	v_lshrrev_b32_e32 v2, 10, v1                               // 000000001C4C: 2004028A
	v_and_b32_e32 v2, 0x3ff, v2                                // 000000001C50: 260404FF 000003FF
	v_and_b32_e32 v1, 0x3ff, v1                                // 000000001C58: 260202FF 000003FF
	v_and_b32_e32 v0, 0x3ff, v0                                // 000000001C60: 260000FF 000003FF
	v_lshrrev_b32_e32 v3, 6, v0                                // 000000001C68: 20060086
	v_and_b32_e32 v0, 63, v0                                   // 000000001C6C: 260000BF
	s_mov_b32 s19, s2                                          // 000000001C70: BE930002
	v_readfirstlane_b32 s52, v3                                // 000000001C74: 7E680503
	s_waitcnt lgkmcnt(0)                                       // 000000001C78: BF8CC07F
	s_mov_b32 s6, -16                                          // 000000001C7C: BE8600D0
	s_mov_b32 s10, -16                                         // 000000001C80: BE8A00D0
	s_mov_b32 s14, -16                                         // 000000001C84: BE8E00D0
	s_mov_b32 s7, 0x20000                                      // 000000001C88: BE8700FF 00020000
	s_mov_b32 s11, 0x20000                                     // 000000001C90: BE8B00FF 00020000
	s_mov_b32 s15, 0x20000                                     // 000000001C98: BE8F00FF 00020000
	s_and_b32 s5, s5, 0xffff                                   // 000000001CA0: 8605FF05 0000FFFF
	s_and_b32 s9, s9, 0xffff                                   // 000000001CA8: 8609FF09 0000FFFF
	s_and_b32 s13, s13, 0xffff                                 // 000000001CB0: 860DFF0D 0000FFFF
	s_or_b32 s5, s5, 0x40000                                   // 000000001CB8: 8705FF05 00040000
	s_or_b32 s9, s9, 0x40000                                   // 000000001CC0: 8709FF09 00040000
	s_or_b32 s13, s13, 0x40000                                 // 000000001CC8: 870DFF0D 00040000
	s_mul_i32 s20, s16, s17                                    // 000000001CD0: 92141110
	s_mul_i32 s20, s20, 4                                      // 000000001CD4: 92148414
	s_mov_b32 s14, s20                                         // 000000001CD8: BE8E0014
	v_lshlrev_b32_e32 v8, 2, v0                                // 000000001CDC: 24100082
	s_mul_i32 s20, s17, 4                                      // 000000001CE0: 92148411
	s_mul_i32 s21, s19, 4                                      // 000000001CE4: 92158413
	s_add_i32 s21, s21, s52                                    // 000000001CE8: 81153415
	s_mul_i32 s20, s20, s21                                    // 000000001CEC: 92141514
	v_add_u32_e32 v8, s20, v8                                  // 000000001CF0: 68101014
	buffer_load_dword v11, v8, s[12:15], 0 offen               // 000000001CF4: E0501000 80030B08
	buffer_load_dword v12, v8, s[12:15], 0 offen offset:256    // 000000001CFC: E0501100 80030C08
	buffer_load_dword v13, v8, s[12:15], 0 offen offset:512    // 000000001D04: E0501200 80030D08
	buffer_load_dword v14, v8, s[12:15], 0 offen offset:768    // 000000001D0C: E0501300 80030E08
	v_mov_b32_e32 v17, 0                                       // 000000001D14: 7E220280
	v_mov_b32_e32 v18, 0                                       // 000000001D18: 7E240280
	v_mov_b32_e32 v19, 0                                       // 000000001D1C: 7E260280
	v_mov_b32_e32 v20, 0                                       // 000000001D20: 7E280280
	v_mov_b32_e32 v15, 0                                       // 000000001D24: 7E1E0280
	v_mov_b32_e32 v16, 0                                       // 000000001D28: 7E200280
	v_mov_b32_e32 v21, 0                                       // 000000001D2C: 7E2A0280
	s_mov_b32 s18, 6                                           // 000000001D30: BE920086
	v_lshlrev_b32_e32 v9, 2, v0                                // 000000001D34: 24120082
	s_mov_b32 s20, s55                                         // 000000001D38: BE940037
	s_mul_i32 s21, s19, 4                                      // 000000001D3C: 92158413
	s_add_i32 s21, s21, s52                                    // 000000001D40: 81153415
	s_mul_i32 s20, s20, s21                                    // 000000001D44: 92141514
	v_add_u32_e32 v9, s20, v9                                  // 000000001D48: 68121214
	v_mov_b32_e32 v10, v9                                      // 000000001D4C: 7E140309
	s_mul_i32 s20, s16, s55                                    // 000000001D50: 92143710
	s_mov_b32 s6, s20                                          // 000000001D54: BE860014
	s_mov_b32 s10, s20                                         // 000000001D58: BE8A0014
	s_mov_b32 s53, 0x3fb8aa3b                                  // 000000001D5C: BEB500FF 3FB8AA3B
	s_mov_b32 s40, 0                                           // 000000001D64: BEA80080
	s_mov_b32 s46, 1                                           // 000000001D68: BEAE0081
	s_mov_b32 s41, 0                                           // 000000001D6C: BEA90080
	s_mov_b32 s47, 1                                           // 000000001D70: BEAF0081
	s_mov_b32 s42, 0                                           // 000000001D74: BEAA0080
	s_mov_b32 s48, 1                                           // 000000001D78: BEB00081
	s_mov_b32 s43, 0                                           // 000000001D7C: BEAB0080
	s_mov_b32 s49, 1                                           // 000000001D80: BEB10081
	s_mov_b32 s44, 0                                           // 000000001D84: BEAC0080
	s_mov_b32 s50, 1                                           // 000000001D88: BEB20081
	s_mov_b32 s45, 0                                           // 000000001D8C: BEAD0080
	s_mov_b32 s51, 1                                           // 000000001D90: BEB30081
	s_waitcnt vmcnt(0) expcnt(0) lgkmcnt(0)                    // 000000001D94: BF8C0000
	v_mul_f32_e64 v11, v11, s53                                // 000000001D98: D105000B 00006B0B
	v_exp_f32_e32 v11, v11                                     // 000000001DA0: 7E16410B
	v_mul_f32_e64 v12, v12, s53                                // 000000001DA4: D105000C 00006B0C
	v_exp_f32_e32 v12, v12                                     // 000000001DAC: 7E18410C
	v_mul_f32_e64 v13, v13, s53                                // 000000001DB0: D105000D 00006B0D
	v_exp_f32_e32 v13, v13                                     // 000000001DB8: 7E1A410D
	v_mul_f32_e64 v14, v14, s53                                // 000000001DBC: D105000E 00006B0E
	v_exp_f32_e32 v14, v14                                     // 000000001DC4: 7E1C410E
	s_nop 0                                                    // 000000001DC8: BF800000
	v_add_f32_e32 v17, v17, v11                                // 000000001DCC: 02221711
	v_add_f32_e32 v17, v17, v12                                // 000000001DD0: 02221911
	v_add_f32_e32 v17, v17, v13                                // 000000001DD4: 02221B11
	v_add_f32_e32 v17, v17, v14                                // 000000001DD8: 02221D11
	s_nop 1                                                    // 000000001DDC: BF800001
	v_add_f32_dpp v4, v17, v17 quad_perm:[1,0,3,2] row_mask:0xf bank_mask:0xf// 000000001DE0: 020822FA FF00B111
	s_nop 1                                                    // 000000001DE8: BF800001
	v_add_f32_dpp v4, v4, v4 quad_perm:[2,3,0,1] row_mask:0xf bank_mask:0xf// 000000001DEC: 020808FA FF004E04
	s_nop 1                                                    // 000000001DF4: BF800001
	v_add_f32_dpp v4, v4, v4 row_shr:4 row_mask:0xf bank_mask:0xf// 000000001DF8: 020808FA FF011404
	s_nop 1                                                    // 000000001E00: BF800001
	v_add_f32_dpp v4, v4, v4 row_shr:8 row_mask:0xf bank_mask:0xf// 000000001E04: 020808FA FF011804
	s_nop 1                                                    // 000000001E0C: BF800001
	v_add_f32_dpp v4, v4, v4 row_bcast:15 row_mask:0xf bank_mask:0xf// 000000001E10: 020808FA FF014204
	s_nop 1                                                    // 000000001E18: BF800001
	v_add_f32_dpp v4, v4, v4 row_bcast:31 row_mask:0xf bank_mask:0xf// 000000001E1C: 020808FA FF014304
	s_nop 0                                                    // 000000001E24: BF800000
	v_readlane_b32 s20, v4, 63                                 // 000000001E28: D2890014 00017F04
	v_mov_b32_e32 v18, s20                                     // 000000001E30: 7E240214
	v_rcp_f32_e32 v17, v18                                     // 000000001E34: 7E224512
	s_nop 0                                                    // 000000001E38: BF800000
	v_mul_f32_e32 v11, v11, v17                                // 000000001E3C: 0A16230B
	v_mul_f32_e32 v12, v12, v17                                // 000000001E40: 0A18230C
	v_mul_f32_e32 v13, v13, v17                                // 000000001E44: 0A1A230D
	v_mul_f32_e32 v14, v14, v17                                // 000000001E48: 0A1C230E
	s_cmp_eq_u32 s54, 0                                        // 000000001E4C: BF068036
	s_cbranch_scc0 label_0239                                  // 000000001E50: BF8401A4
	v_max_f32_e32 v19, v11, v12                                // 000000001E54: 1626190B
	v_max3_f32 v19, v19, v13, v14                              // 000000001E58: D1D30013 043A1B13
	s_nop 1                                                    // 000000001E60: BF800001
	v_max_f32_dpp v4, v19, v19 quad_perm:[1,0,3,2] row_mask:0xf bank_mask:0xf// 000000001E64: 160826FA FF00B113
	s_nop 1                                                    // 000000001E6C: BF800001
	v_max_f32_dpp v4, v4, v4 quad_perm:[2,3,0,1] row_mask:0xf bank_mask:0xf// 000000001E70: 160808FA FF004E04
	s_nop 1                                                    // 000000001E78: BF800001
	v_max_f32_dpp v4, v4, v4 row_shr:4 row_mask:0xf bank_mask:0xf// 000000001E7C: 160808FA FF011404
	s_nop 1                                                    // 000000001E84: BF800001
	v_max_f32_dpp v4, v4, v4 row_shr:8 row_mask:0xf bank_mask:0xf// 000000001E88: 160808FA FF011804
	s_nop 1                                                    // 000000001E90: BF800001
	v_max_f32_dpp v4, v4, v4 row_bcast:15 row_mask:0xf bank_mask:0xf// 000000001E94: 160808FA FF014204
	s_nop 1                                                    // 000000001E9C: BF800001
	v_max_f32_dpp v4, v4, v4 row_bcast:31 row_mask:0xf bank_mask:0xf// 000000001EA0: 160808FA FF014304
	s_nop 0                                                    // 000000001EA8: BF800000
	v_readlane_b32 s20, v4, 63                                 // 000000001EAC: D2890014 00017F04
	v_mov_b32_e32 v19, s20                                     // 000000001EB4: 7E260214
	v_cmp_eq_f32_e64 s[24:25], v19, v11                        // 000000001EB8: D0420018 00021713
	v_cmp_eq_f32_e64 s[26:27], v19, v12                        // 000000001EC0: D042001A 00021913
	v_cmp_eq_f32_e64 s[28:29], v19, v13                        // 000000001EC8: D042001C 00021B13
	v_cmp_eq_f32_e64 s[30:31], v19, v14                        // 000000001ED0: D042001E 00021D13
	s_ff1_i32_b64 s32, s[24:25]                                // 000000001ED8: BEA01118
	s_ff1_i32_b64 s33, s[26:27]                                // 000000001EDC: BEA1111A
	s_ff1_i32_b64 s34, s[28:29]                                // 000000001EE0: BEA2111C
	s_ff1_i32_b64 s35, s[30:31]                                // 000000001EE4: BEA3111E
	v_readlane_b32 s20, v19, 0                                 // 000000001EE8: D2890014 00010113
	v_writelane_b32 v16, s20, 0                                // 000000001EF0: D28A0010 00010014
	s_mov_b32 s22, s32                                         // 000000001EF8: BE960020
	s_cmp_eq_u32 s32, -1                                       // 000000001EFC: BF06C120
	s_cselect_b32 s21, 1, 0                                    // 000000001F00: 85158081
	s_cbranch_scc0 label_00D2                                  // 000000001F04: BF840010
	s_add_u32 s40, s21, s40                                    // 000000001F08: 80282815
	s_mov_b32 s22, s33                                         // 000000001F0C: BE960021
	s_cmp_eq_u32 s33, -1                                       // 000000001F10: BF06C121
	s_cselect_b32 s21, 1, 0                                    // 000000001F14: 85158081
	s_cbranch_scc0 label_00D2                                  // 000000001F18: BF84000B
	s_add_u32 s40, s21, s40                                    // 000000001F1C: 80282815
	s_mov_b32 s22, s34                                         // 000000001F20: BE960022
	s_cmp_eq_u32 s34, -1                                       // 000000001F24: BF06C122
	s_cselect_b32 s21, 1, 0                                    // 000000001F28: 85158081
	s_cbranch_scc0 label_00D2                                  // 000000001F2C: BF840006
	s_add_u32 s40, s21, s40                                    // 000000001F30: 80282815
	s_mov_b32 s22, s35                                         // 000000001F34: BE960023
	s_cmp_eq_u32 s35, -1                                       // 000000001F38: BF06C123
	s_cselect_b32 s21, 1, 0                                    // 000000001F3C: 85158081
	s_cbranch_scc0 label_00D2                                  // 000000001F40: BF840001
	s_add_u32 s40, s21, s40                                    // 000000001F44: 80282815

0000000000001f48 <label_00D2>:
	s_set_gpr_idx_on s40, gpr_idx(DST)                         // 000000001F48: BF110828
	v_writelane_b32 v11, 0, s22                                // 000000001F4C: D28A000B 00002C80
	s_set_gpr_idx_off                                          // 000000001F54: BF9C0000
	s_mul_i32 s40, 64, s40                                     // 000000001F58: 922828C0
	s_add_u32 s40, s22, s40                                    // 000000001F5C: 80282816
	v_writelane_b32 v15, s40, 0                                // 000000001F60: D28A000F 00010028
	v_max_f32_e32 v19, v11, v12                                // 000000001F68: 1626190B
	v_max3_f32 v19, v19, v13, v14                              // 000000001F6C: D1D30013 043A1B13
	s_nop 1                                                    // 000000001F74: BF800001
	v_max_f32_dpp v4, v19, v19 quad_perm:[1,0,3,2] row_mask:0xf bank_mask:0xf// 000000001F78: 160826FA FF00B113
	s_nop 1                                                    // 000000001F80: BF800001
	v_max_f32_dpp v4, v4, v4 quad_perm:[2,3,0,1] row_mask:0xf bank_mask:0xf// 000000001F84: 160808FA FF004E04
	s_nop 1                                                    // 000000001F8C: BF800001
	v_max_f32_dpp v4, v4, v4 row_shr:4 row_mask:0xf bank_mask:0xf// 000000001F90: 160808FA FF011404
	s_nop 1                                                    // 000000001F98: BF800001
	v_max_f32_dpp v4, v4, v4 row_shr:8 row_mask:0xf bank_mask:0xf// 000000001F9C: 160808FA FF011804
	s_nop 1                                                    // 000000001FA4: BF800001
	v_max_f32_dpp v4, v4, v4 row_bcast:15 row_mask:0xf bank_mask:0xf// 000000001FA8: 160808FA FF014204
	s_nop 1                                                    // 000000001FB0: BF800001
	v_max_f32_dpp v4, v4, v4 row_bcast:31 row_mask:0xf bank_mask:0xf// 000000001FB4: 160808FA FF014304
	s_nop 0                                                    // 000000001FBC: BF800000
	v_readlane_b32 s20, v4, 63                                 // 000000001FC0: D2890014 00017F04
	v_mov_b32_e32 v19, s20                                     // 000000001FC8: 7E260214
	v_cmp_eq_f32_e64 s[24:25], v19, v11                        // 000000001FCC: D0420018 00021713
	v_cmp_eq_f32_e64 s[26:27], v19, v12                        // 000000001FD4: D042001A 00021913
	v_cmp_eq_f32_e64 s[28:29], v19, v13                        // 000000001FDC: D042001C 00021B13
	v_cmp_eq_f32_e64 s[30:31], v19, v14                        // 000000001FE4: D042001E 00021D13
	s_ff1_i32_b64 s32, s[24:25]                                // 000000001FEC: BEA01118
	s_ff1_i32_b64 s33, s[26:27]                                // 000000001FF0: BEA1111A
	s_ff1_i32_b64 s34, s[28:29]                                // 000000001FF4: BEA2111C
	s_ff1_i32_b64 s35, s[30:31]                                // 000000001FF8: BEA3111E
	v_readlane_b32 s20, v19, 0                                 // 000000001FFC: D2890014 00010113
	v_writelane_b32 v16, s20, 1                                // 000000002004: D28A0010 00010214
	s_mov_b32 s22, s32                                         // 00000000200C: BE960020
	s_cmp_eq_u32 s32, -1                                       // 000000002010: BF06C120
	s_cselect_b32 s21, 1, 0                                    // 000000002014: 85158081
	s_cbranch_scc0 label_0117                                  // 000000002018: BF840010
	s_add_u32 s41, s21, s41                                    // 00000000201C: 80292915
	s_mov_b32 s22, s33                                         // 000000002020: BE960021
	s_cmp_eq_u32 s33, -1                                       // 000000002024: BF06C121
	s_cselect_b32 s21, 1, 0                                    // 000000002028: 85158081
	s_cbranch_scc0 label_0117                                  // 00000000202C: BF84000B
	s_add_u32 s41, s21, s41                                    // 000000002030: 80292915
	s_mov_b32 s22, s34                                         // 000000002034: BE960022
	s_cmp_eq_u32 s34, -1                                       // 000000002038: BF06C122
	s_cselect_b32 s21, 1, 0                                    // 00000000203C: 85158081
	s_cbranch_scc0 label_0117                                  // 000000002040: BF840006
	s_add_u32 s41, s21, s41                                    // 000000002044: 80292915
	s_mov_b32 s22, s35                                         // 000000002048: BE960023
	s_cmp_eq_u32 s35, -1                                       // 00000000204C: BF06C123
	s_cselect_b32 s21, 1, 0                                    // 000000002050: 85158081
	s_cbranch_scc0 label_0117                                  // 000000002054: BF840001
	s_add_u32 s41, s21, s41                                    // 000000002058: 80292915

000000000000205c <label_0117>:
	s_set_gpr_idx_on s41, gpr_idx(DST)                         // 00000000205C: BF110829
	v_writelane_b32 v11, 0, s22                                // 000000002060: D28A000B 00002C80
	s_set_gpr_idx_off                                          // 000000002068: BF9C0000
	s_mul_i32 s41, 64, s41                                     // 00000000206C: 922929C0
	s_add_u32 s41, s22, s41                                    // 000000002070: 80292916
	v_writelane_b32 v15, s41, 1                                // 000000002074: D28A000F 00010229
	v_max_f32_e32 v19, v11, v12                                // 00000000207C: 1626190B
	v_max3_f32 v19, v19, v13, v14                              // 000000002080: D1D30013 043A1B13
	s_nop 1                                                    // 000000002088: BF800001
	v_max_f32_dpp v4, v19, v19 quad_perm:[1,0,3,2] row_mask:0xf bank_mask:0xf// 00000000208C: 160826FA FF00B113
	s_nop 1                                                    // 000000002094: BF800001
	v_max_f32_dpp v4, v4, v4 quad_perm:[2,3,0,1] row_mask:0xf bank_mask:0xf// 000000002098: 160808FA FF004E04
	s_nop 1                                                    // 0000000020A0: BF800001
	v_max_f32_dpp v4, v4, v4 row_shr:4 row_mask:0xf bank_mask:0xf// 0000000020A4: 160808FA FF011404
	s_nop 1                                                    // 0000000020AC: BF800001
	v_max_f32_dpp v4, v4, v4 row_shr:8 row_mask:0xf bank_mask:0xf// 0000000020B0: 160808FA FF011804
	s_nop 1                                                    // 0000000020B8: BF800001
	v_max_f32_dpp v4, v4, v4 row_bcast:15 row_mask:0xf bank_mask:0xf// 0000000020BC: 160808FA FF014204
	s_nop 1                                                    // 0000000020C4: BF800001
	v_max_f32_dpp v4, v4, v4 row_bcast:31 row_mask:0xf bank_mask:0xf// 0000000020C8: 160808FA FF014304
	s_nop 0                                                    // 0000000020D0: BF800000
	v_readlane_b32 s20, v4, 63                                 // 0000000020D4: D2890014 00017F04
	v_mov_b32_e32 v19, s20                                     // 0000000020DC: 7E260214
	v_cmp_eq_f32_e64 s[24:25], v19, v11                        // 0000000020E0: D0420018 00021713
	v_cmp_eq_f32_e64 s[26:27], v19, v12                        // 0000000020E8: D042001A 00021913
	v_cmp_eq_f32_e64 s[28:29], v19, v13                        // 0000000020F0: D042001C 00021B13
	v_cmp_eq_f32_e64 s[30:31], v19, v14                        // 0000000020F8: D042001E 00021D13
	s_ff1_i32_b64 s32, s[24:25]                                // 000000002100: BEA01118
	s_ff1_i32_b64 s33, s[26:27]                                // 000000002104: BEA1111A
	s_ff1_i32_b64 s34, s[28:29]                                // 000000002108: BEA2111C
	s_ff1_i32_b64 s35, s[30:31]                                // 00000000210C: BEA3111E
	v_readlane_b32 s20, v19, 0                                 // 000000002110: D2890014 00010113
	v_writelane_b32 v16, s20, 2                                // 000000002118: D28A0010 00010414
	s_mov_b32 s22, s32                                         // 000000002120: BE960020
	s_cmp_eq_u32 s32, -1                                       // 000000002124: BF06C120
	s_cselect_b32 s21, 1, 0                                    // 000000002128: 85158081
	s_cbranch_scc0 label_015C                                  // 00000000212C: BF840010
	s_add_u32 s42, s21, s42                                    // 000000002130: 802A2A15
	s_mov_b32 s22, s33                                         // 000000002134: BE960021
	s_cmp_eq_u32 s33, -1                                       // 000000002138: BF06C121
	s_cselect_b32 s21, 1, 0                                    // 00000000213C: 85158081
	s_cbranch_scc0 label_015C                                  // 000000002140: BF84000B
	s_add_u32 s42, s21, s42                                    // 000000002144: 802A2A15
	s_mov_b32 s22, s34                                         // 000000002148: BE960022
	s_cmp_eq_u32 s34, -1                                       // 00000000214C: BF06C122
	s_cselect_b32 s21, 1, 0                                    // 000000002150: 85158081
	s_cbranch_scc0 label_015C                                  // 000000002154: BF840006
	s_add_u32 s42, s21, s42                                    // 000000002158: 802A2A15
	s_mov_b32 s22, s35                                         // 00000000215C: BE960023
	s_cmp_eq_u32 s35, -1                                       // 000000002160: BF06C123
	s_cselect_b32 s21, 1, 0                                    // 000000002164: 85158081
	s_cbranch_scc0 label_015C                                  // 000000002168: BF840001
	s_add_u32 s42, s21, s42                                    // 00000000216C: 802A2A15

0000000000002170 <label_015C>:
	s_set_gpr_idx_on s42, gpr_idx(DST)                         // 000000002170: BF11082A
	v_writelane_b32 v11, 0, s22                                // 000000002174: D28A000B 00002C80
	s_set_gpr_idx_off                                          // 00000000217C: BF9C0000
	s_mul_i32 s42, 64, s42                                     // 000000002180: 922A2AC0
	s_add_u32 s42, s22, s42                                    // 000000002184: 802A2A16
	v_writelane_b32 v15, s42, 2                                // 000000002188: D28A000F 0001042A
	v_max_f32_e32 v19, v11, v12                                // 000000002190: 1626190B
	v_max3_f32 v19, v19, v13, v14                              // 000000002194: D1D30013 043A1B13
	s_nop 1                                                    // 00000000219C: BF800001
	v_max_f32_dpp v4, v19, v19 quad_perm:[1,0,3,2] row_mask:0xf bank_mask:0xf// 0000000021A0: 160826FA FF00B113
	s_nop 1                                                    // 0000000021A8: BF800001
	v_max_f32_dpp v4, v4, v4 quad_perm:[2,3,0,1] row_mask:0xf bank_mask:0xf// 0000000021AC: 160808FA FF004E04
	s_nop 1                                                    // 0000000021B4: BF800001
	v_max_f32_dpp v4, v4, v4 row_shr:4 row_mask:0xf bank_mask:0xf// 0000000021B8: 160808FA FF011404
	s_nop 1                                                    // 0000000021C0: BF800001
	v_max_f32_dpp v4, v4, v4 row_shr:8 row_mask:0xf bank_mask:0xf// 0000000021C4: 160808FA FF011804
	s_nop 1                                                    // 0000000021CC: BF800001
	v_max_f32_dpp v4, v4, v4 row_bcast:15 row_mask:0xf bank_mask:0xf// 0000000021D0: 160808FA FF014204
	s_nop 1                                                    // 0000000021D8: BF800001
	v_max_f32_dpp v4, v4, v4 row_bcast:31 row_mask:0xf bank_mask:0xf// 0000000021DC: 160808FA FF014304
	s_nop 0                                                    // 0000000021E4: BF800000
	v_readlane_b32 s20, v4, 63                                 // 0000000021E8: D2890014 00017F04
	v_mov_b32_e32 v19, s20                                     // 0000000021F0: 7E260214
	v_cmp_eq_f32_e64 s[24:25], v19, v11                        // 0000000021F4: D0420018 00021713
	v_cmp_eq_f32_e64 s[26:27], v19, v12                        // 0000000021FC: D042001A 00021913
	v_cmp_eq_f32_e64 s[28:29], v19, v13                        // 000000002204: D042001C 00021B13
	v_cmp_eq_f32_e64 s[30:31], v19, v14                        // 00000000220C: D042001E 00021D13
	s_ff1_i32_b64 s32, s[24:25]                                // 000000002214: BEA01118
	s_ff1_i32_b64 s33, s[26:27]                                // 000000002218: BEA1111A
	s_ff1_i32_b64 s34, s[28:29]                                // 00000000221C: BEA2111C
	s_ff1_i32_b64 s35, s[30:31]                                // 000000002220: BEA3111E
	v_readlane_b32 s20, v19, 0                                 // 000000002224: D2890014 00010113
	v_writelane_b32 v16, s20, 3                                // 00000000222C: D28A0010 00010614
	s_mov_b32 s22, s32                                         // 000000002234: BE960020
	s_cmp_eq_u32 s32, -1                                       // 000000002238: BF06C120
	s_cselect_b32 s21, 1, 0                                    // 00000000223C: 85158081
	s_cbranch_scc0 label_01A1                                  // 000000002240: BF840010
	s_add_u32 s43, s21, s43                                    // 000000002244: 802B2B15
	s_mov_b32 s22, s33                                         // 000000002248: BE960021
	s_cmp_eq_u32 s33, -1                                       // 00000000224C: BF06C121
	s_cselect_b32 s21, 1, 0                                    // 000000002250: 85158081
	s_cbranch_scc0 label_01A1                                  // 000000002254: BF84000B
	s_add_u32 s43, s21, s43                                    // 000000002258: 802B2B15
	s_mov_b32 s22, s34                                         // 00000000225C: BE960022
	s_cmp_eq_u32 s34, -1                                       // 000000002260: BF06C122
	s_cselect_b32 s21, 1, 0                                    // 000000002264: 85158081
	s_cbranch_scc0 label_01A1                                  // 000000002268: BF840006
	s_add_u32 s43, s21, s43                                    // 00000000226C: 802B2B15
	s_mov_b32 s22, s35                                         // 000000002270: BE960023
	s_cmp_eq_u32 s35, -1                                       // 000000002274: BF06C123
	s_cselect_b32 s21, 1, 0                                    // 000000002278: 85158081
	s_cbranch_scc0 label_01A1                                  // 00000000227C: BF840001
	s_add_u32 s43, s21, s43                                    // 000000002280: 802B2B15

0000000000002284 <label_01A1>:
	s_set_gpr_idx_on s43, gpr_idx(DST)                         // 000000002284: BF11082B
	v_writelane_b32 v11, 0, s22                                // 000000002288: D28A000B 00002C80
	s_set_gpr_idx_off                                          // 000000002290: BF9C0000
	s_mul_i32 s43, 64, s43                                     // 000000002294: 922B2BC0
	s_add_u32 s43, s22, s43                                    // 000000002298: 802B2B16
	v_writelane_b32 v15, s43, 3                                // 00000000229C: D28A000F 0001062B
	v_max_f32_e32 v19, v11, v12                                // 0000000022A4: 1626190B
	v_max3_f32 v19, v19, v13, v14                              // 0000000022A8: D1D30013 043A1B13
	s_nop 1                                                    // 0000000022B0: BF800001
	v_max_f32_dpp v4, v19, v19 quad_perm:[1,0,3,2] row_mask:0xf bank_mask:0xf// 0000000022B4: 160826FA FF00B113
	s_nop 1                                                    // 0000000022BC: BF800001
	v_max_f32_dpp v4, v4, v4 quad_perm:[2,3,0,1] row_mask:0xf bank_mask:0xf// 0000000022C0: 160808FA FF004E04
	s_nop 1                                                    // 0000000022C8: BF800001
	v_max_f32_dpp v4, v4, v4 row_shr:4 row_mask:0xf bank_mask:0xf// 0000000022CC: 160808FA FF011404
	s_nop 1                                                    // 0000000022D4: BF800001
	v_max_f32_dpp v4, v4, v4 row_shr:8 row_mask:0xf bank_mask:0xf// 0000000022D8: 160808FA FF011804
	s_nop 1                                                    // 0000000022E0: BF800001
	v_max_f32_dpp v4, v4, v4 row_bcast:15 row_mask:0xf bank_mask:0xf// 0000000022E4: 160808FA FF014204
	s_nop 1                                                    // 0000000022EC: BF800001
	v_max_f32_dpp v4, v4, v4 row_bcast:31 row_mask:0xf bank_mask:0xf// 0000000022F0: 160808FA FF014304
	s_nop 0                                                    // 0000000022F8: BF800000
	v_readlane_b32 s20, v4, 63                                 // 0000000022FC: D2890014 00017F04
	v_mov_b32_e32 v19, s20                                     // 000000002304: 7E260214
	v_cmp_eq_f32_e64 s[24:25], v19, v11                        // 000000002308: D0420018 00021713
	v_cmp_eq_f32_e64 s[26:27], v19, v12                        // 000000002310: D042001A 00021913
	v_cmp_eq_f32_e64 s[28:29], v19, v13                        // 000000002318: D042001C 00021B13
	v_cmp_eq_f32_e64 s[30:31], v19, v14                        // 000000002320: D042001E 00021D13
	s_ff1_i32_b64 s32, s[24:25]                                // 000000002328: BEA01118
	s_ff1_i32_b64 s33, s[26:27]                                // 00000000232C: BEA1111A
	s_ff1_i32_b64 s34, s[28:29]                                // 000000002330: BEA2111C
	s_ff1_i32_b64 s35, s[30:31]                                // 000000002334: BEA3111E
	v_readlane_b32 s20, v19, 0                                 // 000000002338: D2890014 00010113
	v_writelane_b32 v16, s20, 4                                // 000000002340: D28A0010 00010814
	s_mov_b32 s22, s32                                         // 000000002348: BE960020
	s_cmp_eq_u32 s32, -1                                       // 00000000234C: BF06C120
	s_cselect_b32 s21, 1, 0                                    // 000000002350: 85158081
	s_cbranch_scc0 label_01E6                                  // 000000002354: BF840010
	s_add_u32 s44, s21, s44                                    // 000000002358: 802C2C15
	s_mov_b32 s22, s33                                         // 00000000235C: BE960021
	s_cmp_eq_u32 s33, -1                                       // 000000002360: BF06C121
	s_cselect_b32 s21, 1, 0                                    // 000000002364: 85158081
	s_cbranch_scc0 label_01E6                                  // 000000002368: BF84000B
	s_add_u32 s44, s21, s44                                    // 00000000236C: 802C2C15
	s_mov_b32 s22, s34                                         // 000000002370: BE960022
	s_cmp_eq_u32 s34, -1                                       // 000000002374: BF06C122
	s_cselect_b32 s21, 1, 0                                    // 000000002378: 85158081
	s_cbranch_scc0 label_01E6                                  // 00000000237C: BF840006
	s_add_u32 s44, s21, s44                                    // 000000002380: 802C2C15
	s_mov_b32 s22, s35                                         // 000000002384: BE960023
	s_cmp_eq_u32 s35, -1                                       // 000000002388: BF06C123
	s_cselect_b32 s21, 1, 0                                    // 00000000238C: 85158081
	s_cbranch_scc0 label_01E6                                  // 000000002390: BF840001
	s_add_u32 s44, s21, s44                                    // 000000002394: 802C2C15

0000000000002398 <label_01E6>:
	s_set_gpr_idx_on s44, gpr_idx(DST)                         // 000000002398: BF11082C
	v_writelane_b32 v11, 0, s22                                // 00000000239C: D28A000B 00002C80
	s_set_gpr_idx_off                                          // 0000000023A4: BF9C0000
	s_mul_i32 s44, 64, s44                                     // 0000000023A8: 922C2CC0
	s_add_u32 s44, s22, s44                                    // 0000000023AC: 802C2C16
	v_writelane_b32 v15, s44, 4                                // 0000000023B0: D28A000F 0001082C
	v_max_f32_e32 v19, v11, v12                                // 0000000023B8: 1626190B
	v_max3_f32 v19, v19, v13, v14                              // 0000000023BC: D1D30013 043A1B13
	s_nop 1                                                    // 0000000023C4: BF800001
	v_max_f32_dpp v4, v19, v19 quad_perm:[1,0,3,2] row_mask:0xf bank_mask:0xf// 0000000023C8: 160826FA FF00B113
	s_nop 1                                                    // 0000000023D0: BF800001
	v_max_f32_dpp v4, v4, v4 quad_perm:[2,3,0,1] row_mask:0xf bank_mask:0xf// 0000000023D4: 160808FA FF004E04
	s_nop 1                                                    // 0000000023DC: BF800001
	v_max_f32_dpp v4, v4, v4 row_shr:4 row_mask:0xf bank_mask:0xf// 0000000023E0: 160808FA FF011404
	s_nop 1                                                    // 0000000023E8: BF800001
	v_max_f32_dpp v4, v4, v4 row_shr:8 row_mask:0xf bank_mask:0xf// 0000000023EC: 160808FA FF011804
	s_nop 1                                                    // 0000000023F4: BF800001
	v_max_f32_dpp v4, v4, v4 row_bcast:15 row_mask:0xf bank_mask:0xf// 0000000023F8: 160808FA FF014204
	s_nop 1                                                    // 000000002400: BF800001
	v_max_f32_dpp v4, v4, v4 row_bcast:31 row_mask:0xf bank_mask:0xf// 000000002404: 160808FA FF014304
	s_nop 0                                                    // 00000000240C: BF800000
	v_readlane_b32 s20, v4, 63                                 // 000000002410: D2890014 00017F04
	v_mov_b32_e32 v19, s20                                     // 000000002418: 7E260214
	v_cmp_eq_f32_e64 s[24:25], v19, v11                        // 00000000241C: D0420018 00021713
	v_cmp_eq_f32_e64 s[26:27], v19, v12                        // 000000002424: D042001A 00021913
	v_cmp_eq_f32_e64 s[28:29], v19, v13                        // 00000000242C: D042001C 00021B13
	v_cmp_eq_f32_e64 s[30:31], v19, v14                        // 000000002434: D042001E 00021D13
	s_ff1_i32_b64 s32, s[24:25]                                // 00000000243C: BEA01118
	s_ff1_i32_b64 s33, s[26:27]                                // 000000002440: BEA1111A
	s_ff1_i32_b64 s34, s[28:29]                                // 000000002444: BEA2111C
	s_ff1_i32_b64 s35, s[30:31]                                // 000000002448: BEA3111E
	v_readlane_b32 s20, v19, 0                                 // 00000000244C: D2890014 00010113
	v_writelane_b32 v16, s20, 5                                // 000000002454: D28A0010 00010A14
	s_mov_b32 s22, s32                                         // 00000000245C: BE960020
	s_cmp_eq_u32 s32, -1                                       // 000000002460: BF06C120
	s_cselect_b32 s21, 1, 0                                    // 000000002464: 85158081
	s_cbranch_scc0 label_022B                                  // 000000002468: BF840010
	s_add_u32 s45, s21, s45                                    // 00000000246C: 802D2D15
	s_mov_b32 s22, s33                                         // 000000002470: BE960021
	s_cmp_eq_u32 s33, -1                                       // 000000002474: BF06C121
	s_cselect_b32 s21, 1, 0                                    // 000000002478: 85158081
	s_cbranch_scc0 label_022B                                  // 00000000247C: BF84000B
	s_add_u32 s45, s21, s45                                    // 000000002480: 802D2D15
	s_mov_b32 s22, s34                                         // 000000002484: BE960022
	s_cmp_eq_u32 s34, -1                                       // 000000002488: BF06C122
	s_cselect_b32 s21, 1, 0                                    // 00000000248C: 85158081
	s_cbranch_scc0 label_022B                                  // 000000002490: BF840006
	s_add_u32 s45, s21, s45                                    // 000000002494: 802D2D15
	s_mov_b32 s22, s35                                         // 000000002498: BE960023
	s_cmp_eq_u32 s35, -1                                       // 00000000249C: BF06C123
	s_cselect_b32 s21, 1, 0                                    // 0000000024A0: 85158081
	s_cbranch_scc0 label_022B                                  // 0000000024A4: BF840001
	s_add_u32 s45, s21, s45                                    // 0000000024A8: 802D2D15

00000000000024ac <label_022B>:
	s_set_gpr_idx_on s45, gpr_idx(DST)                         // 0000000024AC: BF11082D
	v_writelane_b32 v11, 0, s22                                // 0000000024B0: D28A000B 00002C80
	s_set_gpr_idx_off                                          // 0000000024B8: BF9C0000
	s_mul_i32 s45, 64, s45                                     // 0000000024BC: 922D2DC0
	s_add_u32 s45, s22, s45                                    // 0000000024C0: 802D2D16
	v_writelane_b32 v15, s45, 5                                // 0000000024C4: D28A000F 00010A2D
	s_bfm_b64 exec, s18, 0                                     // 0000000024CC: 91FE8012
	buffer_store_dword v15, v9, s[4:7], 0 offen                // 0000000024D0: E0701000 80010F09
	buffer_store_dword v16, v10, s[8:11], 0 offen              // 0000000024D8: E0701000 8002100A
	s_branch label_03E5                                        // 0000000024E0: BF8201AC

00000000000024e4 <label_0239>:
	v_max_f32_e32 v19, v11, v12                                // 0000000024E4: 1626190B
	v_max3_f32 v19, v19, v13, v14                              // 0000000024E8: D1D30013 043A1B13
	s_nop 1                                                    // 0000000024F0: BF800001
	v_max_f32_dpp v4, v19, v19 quad_perm:[1,0,3,2] row_mask:0xf bank_mask:0xf// 0000000024F4: 160826FA FF00B113
	s_nop 1                                                    // 0000000024FC: BF800001
	v_max_f32_dpp v4, v4, v4 quad_perm:[2,3,0,1] row_mask:0xf bank_mask:0xf// 000000002500: 160808FA FF004E04
	s_nop 1                                                    // 000000002508: BF800001
	v_max_f32_dpp v4, v4, v4 row_shr:4 row_mask:0xf bank_mask:0xf// 00000000250C: 160808FA FF011404
	s_nop 1                                                    // 000000002514: BF800001
	v_max_f32_dpp v4, v4, v4 row_shr:8 row_mask:0xf bank_mask:0xf// 000000002518: 160808FA FF011804
	s_nop 1                                                    // 000000002520: BF800001
	v_max_f32_dpp v4, v4, v4 row_bcast:15 row_mask:0xf bank_mask:0xf// 000000002524: 160808FA FF014204
	s_nop 1                                                    // 00000000252C: BF800001
	v_max_f32_dpp v4, v4, v4 row_bcast:31 row_mask:0xf bank_mask:0xf// 000000002530: 160808FA FF014304
	s_nop 0                                                    // 000000002538: BF800000
	v_readlane_b32 s20, v4, 63                                 // 00000000253C: D2890014 00017F04
	v_mov_b32_e32 v19, s20                                     // 000000002544: 7E260214
	v_add_f32_e32 v21, v21, v19                                // 000000002548: 022A2715
	v_cmp_eq_f32_e64 s[24:25], v19, v11                        // 00000000254C: D0420018 00021713
	v_cmp_eq_f32_e64 s[26:27], v19, v12                        // 000000002554: D042001A 00021913
	v_cmp_eq_f32_e64 s[28:29], v19, v13                        // 00000000255C: D042001C 00021B13
	v_cmp_eq_f32_e64 s[30:31], v19, v14                        // 000000002564: D042001E 00021D13
	s_ff1_i32_b64 s32, s[24:25]                                // 00000000256C: BEA01118
	s_ff1_i32_b64 s33, s[26:27]                                // 000000002570: BEA1111A
	s_ff1_i32_b64 s34, s[28:29]                                // 000000002574: BEA2111C
	s_ff1_i32_b64 s35, s[30:31]                                // 000000002578: BEA3111E
	v_readlane_b32 s20, v19, 0                                 // 00000000257C: D2890014 00010113
	v_writelane_b32 v16, s20, 0                                // 000000002584: D28A0010 00010014
	s_mov_b32 s22, s32                                         // 00000000258C: BE960020
	s_cmp_eq_u32 s32, -1                                       // 000000002590: BF06C120
	s_cselect_b32 s21, 1, 0                                    // 000000002594: 85158081
	s_cbranch_scc0 label_0277                                  // 000000002598: BF840010
	s_add_u32 s40, s21, s40                                    // 00000000259C: 80282815
	s_mov_b32 s22, s33                                         // 0000000025A0: BE960021
	s_cmp_eq_u32 s33, -1                                       // 0000000025A4: BF06C121
	s_cselect_b32 s21, 1, 0                                    // 0000000025A8: 85158081
	s_cbranch_scc0 label_0277                                  // 0000000025AC: BF84000B
	s_add_u32 s40, s21, s40                                    // 0000000025B0: 80282815
	s_mov_b32 s22, s34                                         // 0000000025B4: BE960022
	s_cmp_eq_u32 s34, -1                                       // 0000000025B8: BF06C122
	s_cselect_b32 s21, 1, 0                                    // 0000000025BC: 85158081
	s_cbranch_scc0 label_0277                                  // 0000000025C0: BF840006
	s_add_u32 s40, s21, s40                                    // 0000000025C4: 80282815
	s_mov_b32 s22, s35                                         // 0000000025C8: BE960023
	s_cmp_eq_u32 s35, -1                                       // 0000000025CC: BF06C123
	s_cselect_b32 s21, 1, 0                                    // 0000000025D0: 85158081
	s_cbranch_scc0 label_0277                                  // 0000000025D4: BF840001
	s_add_u32 s40, s21, s40                                    // 0000000025D8: 80282815

00000000000025dc <label_0277>:
	s_set_gpr_idx_on s40, gpr_idx(DST)                         // 0000000025DC: BF110828
	v_writelane_b32 v11, 0, s22                                // 0000000025E0: D28A000B 00002C80
	s_set_gpr_idx_off                                          // 0000000025E8: BF9C0000
	s_mul_i32 s40, 64, s40                                     // 0000000025EC: 922828C0
	s_add_u32 s40, s22, s40                                    // 0000000025F0: 80282816
	v_writelane_b32 v15, s40, 0                                // 0000000025F4: D28A000F 00010028
	v_max_f32_e32 v19, v11, v12                                // 0000000025FC: 1626190B
	v_max3_f32 v19, v19, v13, v14                              // 000000002600: D1D30013 043A1B13
	s_nop 1                                                    // 000000002608: BF800001
	v_max_f32_dpp v4, v19, v19 quad_perm:[1,0,3,2] row_mask:0xf bank_mask:0xf// 00000000260C: 160826FA FF00B113
	s_nop 1                                                    // 000000002614: BF800001
	v_max_f32_dpp v4, v4, v4 quad_perm:[2,3,0,1] row_mask:0xf bank_mask:0xf// 000000002618: 160808FA FF004E04
	s_nop 1                                                    // 000000002620: BF800001
	v_max_f32_dpp v4, v4, v4 row_shr:4 row_mask:0xf bank_mask:0xf// 000000002624: 160808FA FF011404
	s_nop 1                                                    // 00000000262C: BF800001
	v_max_f32_dpp v4, v4, v4 row_shr:8 row_mask:0xf bank_mask:0xf// 000000002630: 160808FA FF011804
	s_nop 1                                                    // 000000002638: BF800001
	v_max_f32_dpp v4, v4, v4 row_bcast:15 row_mask:0xf bank_mask:0xf// 00000000263C: 160808FA FF014204
	s_nop 1                                                    // 000000002644: BF800001
	v_max_f32_dpp v4, v4, v4 row_bcast:31 row_mask:0xf bank_mask:0xf// 000000002648: 160808FA FF014304
	s_nop 0                                                    // 000000002650: BF800000
	v_readlane_b32 s20, v4, 63                                 // 000000002654: D2890014 00017F04
	v_mov_b32_e32 v19, s20                                     // 00000000265C: 7E260214
	v_add_f32_e32 v21, v21, v19                                // 000000002660: 022A2715
	v_cmp_eq_f32_e64 s[24:25], v19, v11                        // 000000002664: D0420018 00021713
	v_cmp_eq_f32_e64 s[26:27], v19, v12                        // 00000000266C: D042001A 00021913
	v_cmp_eq_f32_e64 s[28:29], v19, v13                        // 000000002674: D042001C 00021B13
	v_cmp_eq_f32_e64 s[30:31], v19, v14                        // 00000000267C: D042001E 00021D13
	s_ff1_i32_b64 s32, s[24:25]                                // 000000002684: BEA01118
	s_ff1_i32_b64 s33, s[26:27]                                // 000000002688: BEA1111A
	s_ff1_i32_b64 s34, s[28:29]                                // 00000000268C: BEA2111C
	s_ff1_i32_b64 s35, s[30:31]                                // 000000002690: BEA3111E
	v_readlane_b32 s20, v19, 0                                 // 000000002694: D2890014 00010113
	v_writelane_b32 v16, s20, 1                                // 00000000269C: D28A0010 00010214
	s_mov_b32 s22, s32                                         // 0000000026A4: BE960020
	s_cmp_eq_u32 s32, -1                                       // 0000000026A8: BF06C120
	s_cselect_b32 s21, 1, 0                                    // 0000000026AC: 85158081
	s_cbranch_scc0 label_02BD                                  // 0000000026B0: BF840010
	s_add_u32 s41, s21, s41                                    // 0000000026B4: 80292915
	s_mov_b32 s22, s33                                         // 0000000026B8: BE960021
	s_cmp_eq_u32 s33, -1                                       // 0000000026BC: BF06C121
	s_cselect_b32 s21, 1, 0                                    // 0000000026C0: 85158081
	s_cbranch_scc0 label_02BD                                  // 0000000026C4: BF84000B
	s_add_u32 s41, s21, s41                                    // 0000000026C8: 80292915
	s_mov_b32 s22, s34                                         // 0000000026CC: BE960022
	s_cmp_eq_u32 s34, -1                                       // 0000000026D0: BF06C122
	s_cselect_b32 s21, 1, 0                                    // 0000000026D4: 85158081
	s_cbranch_scc0 label_02BD                                  // 0000000026D8: BF840006
	s_add_u32 s41, s21, s41                                    // 0000000026DC: 80292915
	s_mov_b32 s22, s35                                         // 0000000026E0: BE960023
	s_cmp_eq_u32 s35, -1                                       // 0000000026E4: BF06C123
	s_cselect_b32 s21, 1, 0                                    // 0000000026E8: 85158081
	s_cbranch_scc0 label_02BD                                  // 0000000026EC: BF840001
	s_add_u32 s41, s21, s41                                    // 0000000026F0: 80292915

00000000000026f4 <label_02BD>:
	s_set_gpr_idx_on s41, gpr_idx(DST)                         // 0000000026F4: BF110829
	v_writelane_b32 v11, 0, s22                                // 0000000026F8: D28A000B 00002C80
	s_set_gpr_idx_off                                          // 000000002700: BF9C0000
	s_mul_i32 s41, 64, s41                                     // 000000002704: 922929C0
	s_add_u32 s41, s22, s41                                    // 000000002708: 80292916
	v_writelane_b32 v15, s41, 1                                // 00000000270C: D28A000F 00010229
	v_max_f32_e32 v19, v11, v12                                // 000000002714: 1626190B
	v_max3_f32 v19, v19, v13, v14                              // 000000002718: D1D30013 043A1B13
	s_nop 1                                                    // 000000002720: BF800001
	v_max_f32_dpp v4, v19, v19 quad_perm:[1,0,3,2] row_mask:0xf bank_mask:0xf// 000000002724: 160826FA FF00B113
	s_nop 1                                                    // 00000000272C: BF800001
	v_max_f32_dpp v4, v4, v4 quad_perm:[2,3,0,1] row_mask:0xf bank_mask:0xf// 000000002730: 160808FA FF004E04
	s_nop 1                                                    // 000000002738: BF800001
	v_max_f32_dpp v4, v4, v4 row_shr:4 row_mask:0xf bank_mask:0xf// 00000000273C: 160808FA FF011404
	s_nop 1                                                    // 000000002744: BF800001
	v_max_f32_dpp v4, v4, v4 row_shr:8 row_mask:0xf bank_mask:0xf// 000000002748: 160808FA FF011804
	s_nop 1                                                    // 000000002750: BF800001
	v_max_f32_dpp v4, v4, v4 row_bcast:15 row_mask:0xf bank_mask:0xf// 000000002754: 160808FA FF014204
	s_nop 1                                                    // 00000000275C: BF800001
	v_max_f32_dpp v4, v4, v4 row_bcast:31 row_mask:0xf bank_mask:0xf// 000000002760: 160808FA FF014304
	s_nop 0                                                    // 000000002768: BF800000
	v_readlane_b32 s20, v4, 63                                 // 00000000276C: D2890014 00017F04
	v_mov_b32_e32 v19, s20                                     // 000000002774: 7E260214
	v_add_f32_e32 v21, v21, v19                                // 000000002778: 022A2715
	v_cmp_eq_f32_e64 s[24:25], v19, v11                        // 00000000277C: D0420018 00021713
	v_cmp_eq_f32_e64 s[26:27], v19, v12                        // 000000002784: D042001A 00021913
	v_cmp_eq_f32_e64 s[28:29], v19, v13                        // 00000000278C: D042001C 00021B13
	v_cmp_eq_f32_e64 s[30:31], v19, v14                        // 000000002794: D042001E 00021D13
	s_ff1_i32_b64 s32, s[24:25]                                // 00000000279C: BEA01118
	s_ff1_i32_b64 s33, s[26:27]                                // 0000000027A0: BEA1111A
	s_ff1_i32_b64 s34, s[28:29]                                // 0000000027A4: BEA2111C
	s_ff1_i32_b64 s35, s[30:31]                                // 0000000027A8: BEA3111E
	v_readlane_b32 s20, v19, 0                                 // 0000000027AC: D2890014 00010113
	v_writelane_b32 v16, s20, 2                                // 0000000027B4: D28A0010 00010414
	s_mov_b32 s22, s32                                         // 0000000027BC: BE960020
	s_cmp_eq_u32 s32, -1                                       // 0000000027C0: BF06C120
	s_cselect_b32 s21, 1, 0                                    // 0000000027C4: 85158081
	s_cbranch_scc0 label_0303                                  // 0000000027C8: BF840010
	s_add_u32 s42, s21, s42                                    // 0000000027CC: 802A2A15
	s_mov_b32 s22, s33                                         // 0000000027D0: BE960021
	s_cmp_eq_u32 s33, -1                                       // 0000000027D4: BF06C121
	s_cselect_b32 s21, 1, 0                                    // 0000000027D8: 85158081
	s_cbranch_scc0 label_0303                                  // 0000000027DC: BF84000B
	s_add_u32 s42, s21, s42                                    // 0000000027E0: 802A2A15
	s_mov_b32 s22, s34                                         // 0000000027E4: BE960022
	s_cmp_eq_u32 s34, -1                                       // 0000000027E8: BF06C122
	s_cselect_b32 s21, 1, 0                                    // 0000000027EC: 85158081
	s_cbranch_scc0 label_0303                                  // 0000000027F0: BF840006
	s_add_u32 s42, s21, s42                                    // 0000000027F4: 802A2A15
	s_mov_b32 s22, s35                                         // 0000000027F8: BE960023
	s_cmp_eq_u32 s35, -1                                       // 0000000027FC: BF06C123
	s_cselect_b32 s21, 1, 0                                    // 000000002800: 85158081
	s_cbranch_scc0 label_0303                                  // 000000002804: BF840001
	s_add_u32 s42, s21, s42                                    // 000000002808: 802A2A15

000000000000280c <label_0303>:
	s_set_gpr_idx_on s42, gpr_idx(DST)                         // 00000000280C: BF11082A
	v_writelane_b32 v11, 0, s22                                // 000000002810: D28A000B 00002C80
	s_set_gpr_idx_off                                          // 000000002818: BF9C0000
	s_mul_i32 s42, 64, s42                                     // 00000000281C: 922A2AC0
	s_add_u32 s42, s22, s42                                    // 000000002820: 802A2A16
	v_writelane_b32 v15, s42, 2                                // 000000002824: D28A000F 0001042A
	v_max_f32_e32 v19, v11, v12                                // 00000000282C: 1626190B
	v_max3_f32 v19, v19, v13, v14                              // 000000002830: D1D30013 043A1B13
	s_nop 1                                                    // 000000002838: BF800001
	v_max_f32_dpp v4, v19, v19 quad_perm:[1,0,3,2] row_mask:0xf bank_mask:0xf// 00000000283C: 160826FA FF00B113
	s_nop 1                                                    // 000000002844: BF800001
	v_max_f32_dpp v4, v4, v4 quad_perm:[2,3,0,1] row_mask:0xf bank_mask:0xf// 000000002848: 160808FA FF004E04
	s_nop 1                                                    // 000000002850: BF800001
	v_max_f32_dpp v4, v4, v4 row_shr:4 row_mask:0xf bank_mask:0xf// 000000002854: 160808FA FF011404
	s_nop 1                                                    // 00000000285C: BF800001
	v_max_f32_dpp v4, v4, v4 row_shr:8 row_mask:0xf bank_mask:0xf// 000000002860: 160808FA FF011804
	s_nop 1                                                    // 000000002868: BF800001
	v_max_f32_dpp v4, v4, v4 row_bcast:15 row_mask:0xf bank_mask:0xf// 00000000286C: 160808FA FF014204
	s_nop 1                                                    // 000000002874: BF800001
	v_max_f32_dpp v4, v4, v4 row_bcast:31 row_mask:0xf bank_mask:0xf// 000000002878: 160808FA FF014304
	s_nop 0                                                    // 000000002880: BF800000
	v_readlane_b32 s20, v4, 63                                 // 000000002884: D2890014 00017F04
	v_mov_b32_e32 v19, s20                                     // 00000000288C: 7E260214
	v_add_f32_e32 v21, v21, v19                                // 000000002890: 022A2715
	v_cmp_eq_f32_e64 s[24:25], v19, v11                        // 000000002894: D0420018 00021713
	v_cmp_eq_f32_e64 s[26:27], v19, v12                        // 00000000289C: D042001A 00021913
	v_cmp_eq_f32_e64 s[28:29], v19, v13                        // 0000000028A4: D042001C 00021B13
	v_cmp_eq_f32_e64 s[30:31], v19, v14                        // 0000000028AC: D042001E 00021D13
	s_ff1_i32_b64 s32, s[24:25]                                // 0000000028B4: BEA01118
	s_ff1_i32_b64 s33, s[26:27]                                // 0000000028B8: BEA1111A
	s_ff1_i32_b64 s34, s[28:29]                                // 0000000028BC: BEA2111C
	s_ff1_i32_b64 s35, s[30:31]                                // 0000000028C0: BEA3111E
	v_readlane_b32 s20, v19, 0                                 // 0000000028C4: D2890014 00010113
	v_writelane_b32 v16, s20, 3                                // 0000000028CC: D28A0010 00010614
	s_mov_b32 s22, s32                                         // 0000000028D4: BE960020
	s_cmp_eq_u32 s32, -1                                       // 0000000028D8: BF06C120
	s_cselect_b32 s21, 1, 0                                    // 0000000028DC: 85158081
	s_cbranch_scc0 label_0349                                  // 0000000028E0: BF840010
	s_add_u32 s43, s21, s43                                    // 0000000028E4: 802B2B15
	s_mov_b32 s22, s33                                         // 0000000028E8: BE960021
	s_cmp_eq_u32 s33, -1                                       // 0000000028EC: BF06C121
	s_cselect_b32 s21, 1, 0                                    // 0000000028F0: 85158081
	s_cbranch_scc0 label_0349                                  // 0000000028F4: BF84000B
	s_add_u32 s43, s21, s43                                    // 0000000028F8: 802B2B15
	s_mov_b32 s22, s34                                         // 0000000028FC: BE960022
	s_cmp_eq_u32 s34, -1                                       // 000000002900: BF06C122
	s_cselect_b32 s21, 1, 0                                    // 000000002904: 85158081
	s_cbranch_scc0 label_0349                                  // 000000002908: BF840006
	s_add_u32 s43, s21, s43                                    // 00000000290C: 802B2B15
	s_mov_b32 s22, s35                                         // 000000002910: BE960023
	s_cmp_eq_u32 s35, -1                                       // 000000002914: BF06C123
	s_cselect_b32 s21, 1, 0                                    // 000000002918: 85158081
	s_cbranch_scc0 label_0349                                  // 00000000291C: BF840001
	s_add_u32 s43, s21, s43                                    // 000000002920: 802B2B15

0000000000002924 <label_0349>:
	s_set_gpr_idx_on s43, gpr_idx(DST)                         // 000000002924: BF11082B
	v_writelane_b32 v11, 0, s22                                // 000000002928: D28A000B 00002C80
	s_set_gpr_idx_off                                          // 000000002930: BF9C0000
	s_mul_i32 s43, 64, s43                                     // 000000002934: 922B2BC0
	s_add_u32 s43, s22, s43                                    // 000000002938: 802B2B16
	v_writelane_b32 v15, s43, 3                                // 00000000293C: D28A000F 0001062B
	v_max_f32_e32 v19, v11, v12                                // 000000002944: 1626190B
	v_max3_f32 v19, v19, v13, v14                              // 000000002948: D1D30013 043A1B13
	s_nop 1                                                    // 000000002950: BF800001
	v_max_f32_dpp v4, v19, v19 quad_perm:[1,0,3,2] row_mask:0xf bank_mask:0xf// 000000002954: 160826FA FF00B113
	s_nop 1                                                    // 00000000295C: BF800001
	v_max_f32_dpp v4, v4, v4 quad_perm:[2,3,0,1] row_mask:0xf bank_mask:0xf// 000000002960: 160808FA FF004E04
	s_nop 1                                                    // 000000002968: BF800001
	v_max_f32_dpp v4, v4, v4 row_shr:4 row_mask:0xf bank_mask:0xf// 00000000296C: 160808FA FF011404
	s_nop 1                                                    // 000000002974: BF800001
	v_max_f32_dpp v4, v4, v4 row_shr:8 row_mask:0xf bank_mask:0xf// 000000002978: 160808FA FF011804
	s_nop 1                                                    // 000000002980: BF800001
	v_max_f32_dpp v4, v4, v4 row_bcast:15 row_mask:0xf bank_mask:0xf// 000000002984: 160808FA FF014204
	s_nop 1                                                    // 00000000298C: BF800001
	v_max_f32_dpp v4, v4, v4 row_bcast:31 row_mask:0xf bank_mask:0xf// 000000002990: 160808FA FF014304
	s_nop 0                                                    // 000000002998: BF800000
	v_readlane_b32 s20, v4, 63                                 // 00000000299C: D2890014 00017F04
	v_mov_b32_e32 v19, s20                                     // 0000000029A4: 7E260214
	v_add_f32_e32 v21, v21, v19                                // 0000000029A8: 022A2715
	v_cmp_eq_f32_e64 s[24:25], v19, v11                        // 0000000029AC: D0420018 00021713
	v_cmp_eq_f32_e64 s[26:27], v19, v12                        // 0000000029B4: D042001A 00021913
	v_cmp_eq_f32_e64 s[28:29], v19, v13                        // 0000000029BC: D042001C 00021B13
	v_cmp_eq_f32_e64 s[30:31], v19, v14                        // 0000000029C4: D042001E 00021D13
	s_ff1_i32_b64 s32, s[24:25]                                // 0000000029CC: BEA01118
	s_ff1_i32_b64 s33, s[26:27]                                // 0000000029D0: BEA1111A
	s_ff1_i32_b64 s34, s[28:29]                                // 0000000029D4: BEA2111C
	s_ff1_i32_b64 s35, s[30:31]                                // 0000000029D8: BEA3111E
	v_readlane_b32 s20, v19, 0                                 // 0000000029DC: D2890014 00010113
	v_writelane_b32 v16, s20, 4                                // 0000000029E4: D28A0010 00010814
	s_mov_b32 s22, s32                                         // 0000000029EC: BE960020
	s_cmp_eq_u32 s32, -1                                       // 0000000029F0: BF06C120
	s_cselect_b32 s21, 1, 0                                    // 0000000029F4: 85158081
	s_cbranch_scc0 label_038F                                  // 0000000029F8: BF840010
	s_add_u32 s44, s21, s44                                    // 0000000029FC: 802C2C15
	s_mov_b32 s22, s33                                         // 000000002A00: BE960021
	s_cmp_eq_u32 s33, -1                                       // 000000002A04: BF06C121
	s_cselect_b32 s21, 1, 0                                    // 000000002A08: 85158081
	s_cbranch_scc0 label_038F                                  // 000000002A0C: BF84000B
	s_add_u32 s44, s21, s44                                    // 000000002A10: 802C2C15
	s_mov_b32 s22, s34                                         // 000000002A14: BE960022
	s_cmp_eq_u32 s34, -1                                       // 000000002A18: BF06C122
	s_cselect_b32 s21, 1, 0                                    // 000000002A1C: 85158081
	s_cbranch_scc0 label_038F                                  // 000000002A20: BF840006
	s_add_u32 s44, s21, s44                                    // 000000002A24: 802C2C15
	s_mov_b32 s22, s35                                         // 000000002A28: BE960023
	s_cmp_eq_u32 s35, -1                                       // 000000002A2C: BF06C123
	s_cselect_b32 s21, 1, 0                                    // 000000002A30: 85158081
	s_cbranch_scc0 label_038F                                  // 000000002A34: BF840001
	s_add_u32 s44, s21, s44                                    // 000000002A38: 802C2C15

0000000000002a3c <label_038F>:
	s_set_gpr_idx_on s44, gpr_idx(DST)                         // 000000002A3C: BF11082C
	v_writelane_b32 v11, 0, s22                                // 000000002A40: D28A000B 00002C80
	s_set_gpr_idx_off                                          // 000000002A48: BF9C0000
	s_mul_i32 s44, 64, s44                                     // 000000002A4C: 922C2CC0
	s_add_u32 s44, s22, s44                                    // 000000002A50: 802C2C16
	v_writelane_b32 v15, s44, 4                                // 000000002A54: D28A000F 0001082C
	v_max_f32_e32 v19, v11, v12                                // 000000002A5C: 1626190B
	v_max3_f32 v19, v19, v13, v14                              // 000000002A60: D1D30013 043A1B13
	s_nop 1                                                    // 000000002A68: BF800001
	v_max_f32_dpp v4, v19, v19 quad_perm:[1,0,3,2] row_mask:0xf bank_mask:0xf// 000000002A6C: 160826FA FF00B113
	s_nop 1                                                    // 000000002A74: BF800001
	v_max_f32_dpp v4, v4, v4 quad_perm:[2,3,0,1] row_mask:0xf bank_mask:0xf// 000000002A78: 160808FA FF004E04
	s_nop 1                                                    // 000000002A80: BF800001
	v_max_f32_dpp v4, v4, v4 row_shr:4 row_mask:0xf bank_mask:0xf// 000000002A84: 160808FA FF011404
	s_nop 1                                                    // 000000002A8C: BF800001
	v_max_f32_dpp v4, v4, v4 row_shr:8 row_mask:0xf bank_mask:0xf// 000000002A90: 160808FA FF011804
	s_nop 1                                                    // 000000002A98: BF800001
	v_max_f32_dpp v4, v4, v4 row_bcast:15 row_mask:0xf bank_mask:0xf// 000000002A9C: 160808FA FF014204
	s_nop 1                                                    // 000000002AA4: BF800001
	v_max_f32_dpp v4, v4, v4 row_bcast:31 row_mask:0xf bank_mask:0xf// 000000002AA8: 160808FA FF014304
	s_nop 0                                                    // 000000002AB0: BF800000
	v_readlane_b32 s20, v4, 63                                 // 000000002AB4: D2890014 00017F04
	v_mov_b32_e32 v19, s20                                     // 000000002ABC: 7E260214
	v_add_f32_e32 v21, v21, v19                                // 000000002AC0: 022A2715
	v_cmp_eq_f32_e64 s[24:25], v19, v11                        // 000000002AC4: D0420018 00021713
	v_cmp_eq_f32_e64 s[26:27], v19, v12                        // 000000002ACC: D042001A 00021913
	v_cmp_eq_f32_e64 s[28:29], v19, v13                        // 000000002AD4: D042001C 00021B13
	v_cmp_eq_f32_e64 s[30:31], v19, v14                        // 000000002ADC: D042001E 00021D13
	s_ff1_i32_b64 s32, s[24:25]                                // 000000002AE4: BEA01118
	s_ff1_i32_b64 s33, s[26:27]                                // 000000002AE8: BEA1111A
	s_ff1_i32_b64 s34, s[28:29]                                // 000000002AEC: BEA2111C
	s_ff1_i32_b64 s35, s[30:31]                                // 000000002AF0: BEA3111E
	v_readlane_b32 s20, v19, 0                                 // 000000002AF4: D2890014 00010113
	v_writelane_b32 v16, s20, 5                                // 000000002AFC: D28A0010 00010A14
	s_mov_b32 s22, s32                                         // 000000002B04: BE960020
	s_cmp_eq_u32 s32, -1                                       // 000000002B08: BF06C120
	s_cselect_b32 s21, 1, 0                                    // 000000002B0C: 85158081
	s_cbranch_scc0 label_03D5                                  // 000000002B10: BF840010
	s_add_u32 s45, s21, s45                                    // 000000002B14: 802D2D15
	s_mov_b32 s22, s33                                         // 000000002B18: BE960021
	s_cmp_eq_u32 s33, -1                                       // 000000002B1C: BF06C121
	s_cselect_b32 s21, 1, 0                                    // 000000002B20: 85158081
	s_cbranch_scc0 label_03D5                                  // 000000002B24: BF84000B
	s_add_u32 s45, s21, s45                                    // 000000002B28: 802D2D15
	s_mov_b32 s22, s34                                         // 000000002B2C: BE960022
	s_cmp_eq_u32 s34, -1                                       // 000000002B30: BF06C122
	s_cselect_b32 s21, 1, 0                                    // 000000002B34: 85158081
	s_cbranch_scc0 label_03D5                                  // 000000002B38: BF840006
	s_add_u32 s45, s21, s45                                    // 000000002B3C: 802D2D15
	s_mov_b32 s22, s35                                         // 000000002B40: BE960023
	s_cmp_eq_u32 s35, -1                                       // 000000002B44: BF06C123
	s_cselect_b32 s21, 1, 0                                    // 000000002B48: 85158081
	s_cbranch_scc0 label_03D5                                  // 000000002B4C: BF840001
	s_add_u32 s45, s21, s45                                    // 000000002B50: 802D2D15

0000000000002b54 <label_03D5>:
	s_set_gpr_idx_on s45, gpr_idx(DST)                         // 000000002B54: BF11082D
	v_writelane_b32 v11, 0, s22                                // 000000002B58: D28A000B 00002C80
	s_set_gpr_idx_off                                          // 000000002B60: BF9C0000
	s_mul_i32 s45, 64, s45                                     // 000000002B64: 922D2DC0
	s_add_u32 s45, s22, s45                                    // 000000002B68: 802D2D16
	v_writelane_b32 v15, s45, 5                                // 000000002B6C: D28A000F 00010A2D
	s_bfm_b64 exec, s18, 0                                     // 000000002B74: 91FE8012
	buffer_store_dword v15, v9, s[4:7], 0 offen                // 000000002B78: E0701000 80010F09
	v_rcp_f32_e32 v21, v21                                     // 000000002B80: 7E2A4515
	s_nop 0                                                    // 000000002B84: BF800000
	v_mul_f32_e32 v16, v16, v21                                // 000000002B88: 0A202B10
	buffer_store_dword v16, v10, s[8:11], 0 offen              // 000000002B8C: E0701000 8002100A

0000000000002b94 <label_03E5>:
	s_waitcnt vmcnt(0) expcnt(0) lgkmcnt(0)                    // 000000002B94: BF8C0000
	s_endpgm                                                   // 000000002B98: BF810000
